;; amdgpu-corpus repo=llvm/llvm-project kind=harvested arch=n/a opt=n/a
// NOTE: Assertions have been autogenerated by utils/update_mc_test_checks.py UTC_ARGS: --version 6
// RUN: llvm-mc -triple=amdgcn -mcpu=gfx1100 -show-encoding %s | FileCheck %s

exp mrt0 v0, v0, v0, v0 done
// CHECK: exp mrt0, v0, v0, v0, v0 done           ; encoding: [0x0f,0x08,0x00,0xf8,0x00,0x00,0x00,0x00]

exp mrtz v0, v0, v0, v0 done
// CHECK: exp mrtz, v0, v0, v0, v0 done           ; encoding: [0x8f,0x08,0x00,0xf8,0x00,0x00,0x00,0x00]

exp prim v0, v0, v0, v0 done
// CHECK: exp prim, v0, v0, v0, v0 done           ; encoding: [0x4f,0x09,0x00,0xf8,0x00,0x00,0x00,0x00]

exp pos0 v0, v0, v0, v0 done
// CHECK: exp pos0, v0, v0, v0, v0 done           ; encoding: [0xcf,0x08,0x00,0xf8,0x00,0x00,0x00,0x00]

exp dual_src_blend0 v0, v0, v0, v0 done
// CHECK: exp dual_src_blend0, v0, v0, v0, v0 done ; encoding: [0x5f,0x09,0x00,0xf8,0x00,0x00,0x00,0x00]


exp mrt0 v0, v0, v0, v0 nodone
// CHECK: exp mrt0, v0, v0, v0, v0                ; encoding: [0x0f,0x00,0x00,0xf8,0x00,0x00,0x00,0x00]

exp mrtz v0, v0, v0, v0 nodone
// CHECK: exp mrtz, v0, v0, v0, v0                ; encoding: [0x8f,0x00,0x00,0xf8,0x00,0x00,0x00,0x00]

exp prim v0, v0, v0, v0 nodone
// CHECK: exp prim, v0, v0, v0, v0                ; encoding: [0x4f,0x01,0x00,0xf8,0x00,0x00,0x00,0x00]

exp pos0 v0, v0, v0, v0 nodone
// CHECK: exp pos0, v0, v0, v0, v0                ; encoding: [0xcf,0x00,0x00,0xf8,0x00,0x00,0x00,0x00]

exp dual_src_blend0 v0, v0, v0, v0 nodone
// CHECK: exp dual_src_blend0, v0, v0, v0, v0     ; encoding: [0x5f,0x01,0x00,0xf8,0x00,0x00,0x00,0x00]


exp mrt0 v0, v0, v0, v0 row_en
// CHECK: exp mrt0, v0, v0, v0, v0 row_en         ; encoding: [0x0f,0x20,0x00,0xf8,0x00,0x00,0x00,0x00]

exp mrtz v0, v0, v0, v0 row_en
// CHECK: exp mrtz, v0, v0, v0, v0 row_en         ; encoding: [0x8f,0x20,0x00,0xf8,0x00,0x00,0x00,0x00]

exp prim v0, v0, v0, v0 row_en
// CHECK: exp prim, v0, v0, v0, v0 row_en         ; encoding: [0x4f,0x21,0x00,0xf8,0x00,0x00,0x00,0x00]

exp pos0 v0, v0, v0, v0 row_en
// CHECK: exp pos0, v0, v0, v0, v0 row_en         ; encoding: [0xcf,0x20,0x00,0xf8,0x00,0x00,0x00,0x00]

exp dual_src_blend0 v0, v0, v0, v0 row_en
// CHECK: exp dual_src_blend0, v0, v0, v0, v0 row_en ; encoding: [0x5f,0x21,0x00,0xf8,0x00,0x00,0x00,0x00]

exp mrt0 v0, v0, v0, v0 norow_en
// CHECK: exp mrt0, v0, v0, v0, v0                ; encoding: [0x0f,0x00,0x00,0xf8,0x00,0x00,0x00,0x00]

exp mrtz v0, v0, v0, v0 norow_en
// CHECK: exp mrtz, v0, v0, v0, v0                ; encoding: [0x8f,0x00,0x00,0xf8,0x00,0x00,0x00,0x00]

exp prim v0, v0, v0, v0 norow_en
// CHECK: exp prim, v0, v0, v0, v0                ; encoding: [0x4f,0x01,0x00,0xf8,0x00,0x00,0x00,0x00]

exp pos0 v0, v0, v0, v0 norow_en
// CHECK: exp pos0, v0, v0, v0, v0                ; encoding: [0xcf,0x00,0x00,0xf8,0x00,0x00,0x00,0x00]

exp dual_src_blend0 v0, v0, v0, v0 norow_en
// CHECK: exp dual_src_blend0, v0, v0, v0, v0     ; encoding: [0x5f,0x01,0x00,0xf8,0x00,0x00,0x00,0x00]


exp mrt0 v0, v0, v0, v0 nodone norow_en
// CHECK: exp mrt0, v0, v0, v0, v0                ; encoding: [0x0f,0x00,0x00,0xf8,0x00,0x00,0x00,0x00]

exp mrtz v0, v0, v0, v0 nodone norow_en
// CHECK: exp mrtz, v0, v0, v0, v0                ; encoding: [0x8f,0x00,0x00,0xf8,0x00,0x00,0x00,0x00]

exp prim v0, v0, v0, v0 nodone norow_en
// CHECK: exp prim, v0, v0, v0, v0                ; encoding: [0x4f,0x01,0x00,0xf8,0x00,0x00,0x00,0x00]

exp pos0 v0, v0, v0, v0 nodone norow_en
// CHECK: exp pos0, v0, v0, v0, v0                ; encoding: [0xcf,0x00,0x00,0xf8,0x00,0x00,0x00,0x00]

exp dual_src_blend0 v0, v0, v0, v0 nodone norow_en
// CHECK: exp dual_src_blend0, v0, v0, v0, v0     ; encoding: [0x5f,0x01,0x00,0xf8,0x00,0x00,0x00,0x00]
